;; amdgpu-corpus repo=ROCm/rocFFT kind=compiled arch=gfx950 opt=O3
	.text
	.amdgcn_target "amdgcn-amd-amdhsa--gfx950"
	.amdhsa_code_object_version 6
	.protected	fft_rtc_back_len1296_factors_6_6_6_6_wgs_108_tpt_108_halfLds_sp_ip_CI_sbrr_dirReg ; -- Begin function fft_rtc_back_len1296_factors_6_6_6_6_wgs_108_tpt_108_halfLds_sp_ip_CI_sbrr_dirReg
	.globl	fft_rtc_back_len1296_factors_6_6_6_6_wgs_108_tpt_108_halfLds_sp_ip_CI_sbrr_dirReg
	.p2align	8
	.type	fft_rtc_back_len1296_factors_6_6_6_6_wgs_108_tpt_108_halfLds_sp_ip_CI_sbrr_dirReg,@function
fft_rtc_back_len1296_factors_6_6_6_6_wgs_108_tpt_108_halfLds_sp_ip_CI_sbrr_dirReg: ; @fft_rtc_back_len1296_factors_6_6_6_6_wgs_108_tpt_108_halfLds_sp_ip_CI_sbrr_dirReg
; %bb.0:
	s_load_dwordx2 s[12:13], s[0:1], 0x18
	s_load_dwordx4 s[4:7], s[0:1], 0x0
	s_load_dwordx2 s[10:11], s[0:1], 0x50
	v_mul_u32_u24_e32 v1, 0x25f, v0
	v_add_u32_sdwa v6, s2, v1 dst_sel:DWORD dst_unused:UNUSED_PAD src0_sel:DWORD src1_sel:WORD_1
	s_waitcnt lgkmcnt(0)
	s_load_dwordx2 s[8:9], s[12:13], 0x0
	v_mov_b32_e32 v4, 0
	v_cmp_lt_u64_e64 s[2:3], s[6:7], 2
	v_mov_b32_e32 v7, v4
	s_and_b64 vcc, exec, s[2:3]
	v_mov_b64_e32 v[2:3], 0
	s_cbranch_vccnz .LBB0_8
; %bb.1:
	s_load_dwordx2 s[2:3], s[0:1], 0x10
	s_add_u32 s14, s12, 8
	s_addc_u32 s15, s13, 0
	s_mov_b64 s[16:17], 1
	v_mov_b64_e32 v[2:3], 0
	s_waitcnt lgkmcnt(0)
	s_add_u32 s18, s2, 8
	s_addc_u32 s19, s3, 0
.LBB0_2:                                ; =>This Inner Loop Header: Depth=1
	s_load_dwordx2 s[20:21], s[18:19], 0x0
                                        ; implicit-def: $vgpr8_vgpr9
	s_waitcnt lgkmcnt(0)
	v_or_b32_e32 v5, s21, v7
	v_cmp_ne_u64_e32 vcc, 0, v[4:5]
	s_and_saveexec_b64 s[2:3], vcc
	s_xor_b64 s[22:23], exec, s[2:3]
	s_cbranch_execz .LBB0_4
; %bb.3:                                ;   in Loop: Header=BB0_2 Depth=1
	v_cvt_f32_u32_e32 v1, s20
	v_cvt_f32_u32_e32 v5, s21
	s_sub_u32 s2, 0, s20
	s_subb_u32 s3, 0, s21
	v_fmac_f32_e32 v1, 0x4f800000, v5
	v_rcp_f32_e32 v1, v1
	s_nop 0
	v_mul_f32_e32 v1, 0x5f7ffffc, v1
	v_mul_f32_e32 v5, 0x2f800000, v1
	v_trunc_f32_e32 v5, v5
	v_fmac_f32_e32 v1, 0xcf800000, v5
	v_cvt_u32_f32_e32 v5, v5
	v_cvt_u32_f32_e32 v1, v1
	v_mul_lo_u32 v8, s2, v5
	v_mul_hi_u32 v10, s2, v1
	v_mul_lo_u32 v9, s3, v1
	v_add_u32_e32 v10, v10, v8
	v_mul_lo_u32 v12, s2, v1
	v_add_u32_e32 v13, v10, v9
	v_mul_hi_u32 v8, v1, v12
	v_mul_hi_u32 v11, v1, v13
	v_mul_lo_u32 v10, v1, v13
	v_mov_b32_e32 v9, v4
	v_lshl_add_u64 v[8:9], v[8:9], 0, v[10:11]
	v_mul_hi_u32 v11, v5, v12
	v_mul_lo_u32 v12, v5, v12
	v_add_co_u32_e32 v8, vcc, v8, v12
	v_mul_hi_u32 v10, v5, v13
	s_nop 0
	v_addc_co_u32_e32 v8, vcc, v9, v11, vcc
	v_mov_b32_e32 v9, v4
	s_nop 0
	v_addc_co_u32_e32 v11, vcc, 0, v10, vcc
	v_mul_lo_u32 v10, v5, v13
	v_lshl_add_u64 v[8:9], v[8:9], 0, v[10:11]
	v_add_co_u32_e32 v1, vcc, v1, v8
	v_mul_lo_u32 v10, s2, v1
	s_nop 0
	v_addc_co_u32_e32 v5, vcc, v5, v9, vcc
	v_mul_lo_u32 v8, s2, v5
	v_mul_hi_u32 v9, s2, v1
	v_add_u32_e32 v8, v9, v8
	v_mul_lo_u32 v9, s3, v1
	v_add_u32_e32 v12, v8, v9
	v_mul_hi_u32 v14, v5, v10
	v_mul_lo_u32 v15, v5, v10
	v_mul_hi_u32 v9, v1, v12
	v_mul_lo_u32 v8, v1, v12
	v_mul_hi_u32 v10, v1, v10
	v_mov_b32_e32 v11, v4
	v_lshl_add_u64 v[8:9], v[10:11], 0, v[8:9]
	v_add_co_u32_e32 v8, vcc, v8, v15
	v_mul_hi_u32 v13, v5, v12
	s_nop 0
	v_addc_co_u32_e32 v8, vcc, v9, v14, vcc
	v_mul_lo_u32 v10, v5, v12
	s_nop 0
	v_addc_co_u32_e32 v11, vcc, 0, v13, vcc
	v_mov_b32_e32 v9, v4
	v_lshl_add_u64 v[8:9], v[8:9], 0, v[10:11]
	v_add_co_u32_e32 v1, vcc, v1, v8
	v_mul_hi_u32 v10, v6, v1
	s_nop 0
	v_addc_co_u32_e32 v5, vcc, v5, v9, vcc
	v_mad_u64_u32 v[8:9], s[2:3], v6, v5, 0
	v_mov_b32_e32 v11, v4
	v_lshl_add_u64 v[8:9], v[10:11], 0, v[8:9]
	v_mad_u64_u32 v[12:13], s[2:3], v7, v1, 0
	v_add_co_u32_e32 v1, vcc, v8, v12
	v_mad_u64_u32 v[10:11], s[2:3], v7, v5, 0
	s_nop 0
	v_addc_co_u32_e32 v8, vcc, v9, v13, vcc
	v_mov_b32_e32 v9, v4
	s_nop 0
	v_addc_co_u32_e32 v11, vcc, 0, v11, vcc
	v_lshl_add_u64 v[8:9], v[8:9], 0, v[10:11]
	v_mul_lo_u32 v1, s21, v8
	v_mul_lo_u32 v5, s20, v9
	v_mad_u64_u32 v[10:11], s[2:3], s20, v8, 0
	v_add3_u32 v1, v11, v5, v1
	v_sub_u32_e32 v5, v7, v1
	v_mov_b32_e32 v11, s21
	v_sub_co_u32_e32 v14, vcc, v6, v10
	v_lshl_add_u64 v[12:13], v[8:9], 0, 1
	s_nop 0
	v_subb_co_u32_e64 v5, s[2:3], v5, v11, vcc
	v_subrev_co_u32_e64 v10, s[2:3], s20, v14
	v_subb_co_u32_e32 v1, vcc, v7, v1, vcc
	s_nop 0
	v_subbrev_co_u32_e64 v5, s[2:3], 0, v5, s[2:3]
	v_cmp_le_u32_e64 s[2:3], s21, v5
	v_cmp_le_u32_e32 vcc, s21, v1
	s_nop 0
	v_cndmask_b32_e64 v11, 0, -1, s[2:3]
	v_cmp_le_u32_e64 s[2:3], s20, v10
	s_nop 1
	v_cndmask_b32_e64 v10, 0, -1, s[2:3]
	v_cmp_eq_u32_e64 s[2:3], s21, v5
	s_nop 1
	v_cndmask_b32_e64 v5, v11, v10, s[2:3]
	v_lshl_add_u64 v[10:11], v[8:9], 0, 2
	v_cmp_ne_u32_e64 s[2:3], 0, v5
	s_nop 1
	v_cndmask_b32_e64 v5, v13, v11, s[2:3]
	v_cndmask_b32_e64 v11, 0, -1, vcc
	v_cmp_le_u32_e32 vcc, s20, v14
	s_nop 1
	v_cndmask_b32_e64 v13, 0, -1, vcc
	v_cmp_eq_u32_e32 vcc, s21, v1
	s_nop 1
	v_cndmask_b32_e32 v1, v11, v13, vcc
	v_cmp_ne_u32_e32 vcc, 0, v1
	v_cndmask_b32_e64 v1, v12, v10, s[2:3]
	s_nop 0
	v_cndmask_b32_e32 v9, v9, v5, vcc
	v_cndmask_b32_e32 v8, v8, v1, vcc
.LBB0_4:                                ;   in Loop: Header=BB0_2 Depth=1
	s_andn2_saveexec_b64 s[2:3], s[22:23]
	s_cbranch_execz .LBB0_6
; %bb.5:                                ;   in Loop: Header=BB0_2 Depth=1
	v_cvt_f32_u32_e32 v1, s20
	s_sub_i32 s22, 0, s20
	v_rcp_iflag_f32_e32 v1, v1
	s_nop 0
	v_mul_f32_e32 v1, 0x4f7ffffe, v1
	v_cvt_u32_f32_e32 v1, v1
	v_mul_lo_u32 v5, s22, v1
	v_mul_hi_u32 v5, v1, v5
	v_add_u32_e32 v1, v1, v5
	v_mul_hi_u32 v1, v6, v1
	v_mul_lo_u32 v5, v1, s20
	v_sub_u32_e32 v5, v6, v5
	v_add_u32_e32 v8, 1, v1
	v_subrev_u32_e32 v9, s20, v5
	v_cmp_le_u32_e32 vcc, s20, v5
	s_nop 1
	v_cndmask_b32_e32 v5, v5, v9, vcc
	v_cndmask_b32_e32 v1, v1, v8, vcc
	v_add_u32_e32 v8, 1, v1
	v_cmp_le_u32_e32 vcc, s20, v5
	v_mov_b32_e32 v9, v4
	s_nop 0
	v_cndmask_b32_e32 v8, v1, v8, vcc
.LBB0_6:                                ;   in Loop: Header=BB0_2 Depth=1
	s_or_b64 exec, exec, s[2:3]
	v_mad_u64_u32 v[10:11], s[2:3], v8, s20, 0
	s_load_dwordx2 s[2:3], s[14:15], 0x0
	v_mul_lo_u32 v1, v9, s20
	v_mul_lo_u32 v5, v8, s21
	v_add3_u32 v1, v11, v5, v1
	v_sub_co_u32_e32 v5, vcc, v6, v10
	s_add_u32 s16, s16, 1
	s_nop 0
	v_subb_co_u32_e32 v1, vcc, v7, v1, vcc
	s_addc_u32 s17, s17, 0
	s_waitcnt lgkmcnt(0)
	v_mul_lo_u32 v1, s2, v1
	v_mul_lo_u32 v6, s3, v5
	v_mad_u64_u32 v[2:3], s[2:3], s2, v5, v[2:3]
	s_add_u32 s14, s14, 8
	v_add3_u32 v3, v6, v3, v1
	s_addc_u32 s15, s15, 0
	v_mov_b64_e32 v[6:7], s[6:7]
	s_add_u32 s18, s18, 8
	v_cmp_ge_u64_e32 vcc, s[16:17], v[6:7]
	s_addc_u32 s19, s19, 0
	s_cbranch_vccnz .LBB0_9
; %bb.7:                                ;   in Loop: Header=BB0_2 Depth=1
	v_mov_b64_e32 v[6:7], v[8:9]
	s_branch .LBB0_2
.LBB0_8:
	v_mov_b64_e32 v[8:9], v[6:7]
.LBB0_9:
	s_lshl_b64 s[2:3], s[6:7], 3
	s_add_u32 s2, s12, s2
	s_addc_u32 s3, s13, s3
	s_load_dwordx2 s[6:7], s[2:3], 0x0
	s_load_dwordx2 s[12:13], s[0:1], 0x20
	s_mov_b32 s2, 0x25ed098
                                        ; implicit-def: $vgpr35
	s_waitcnt lgkmcnt(0)
	v_mul_lo_u32 v1, s6, v9
	v_mul_lo_u32 v4, s7, v8
	v_mad_u64_u32 v[2:3], s[0:1], s6, v8, v[2:3]
	v_add3_u32 v3, v4, v3, v1
	v_mul_hi_u32 v1, v0, s2
	v_mul_u32_u24_e32 v1, 0x6c, v1
	v_cmp_gt_u64_e32 vcc, s[12:13], v[8:9]
	v_cmp_le_u64_e64 s[0:1], s[12:13], v[8:9]
	v_sub_u32_e32 v34, v0, v1
	s_and_saveexec_b64 s[2:3], s[0:1]
	s_xor_b64 s[0:1], exec, s[2:3]
; %bb.10:
	v_add_u32_e32 v35, 0x6c, v34
; %bb.11:
	s_or_saveexec_b64 s[0:1], s[0:1]
	v_lshl_add_u64 v[0:1], v[2:3], 3, s[10:11]
                                        ; implicit-def: $vgpr6
                                        ; implicit-def: $vgpr12
                                        ; implicit-def: $vgpr18
                                        ; implicit-def: $vgpr20
                                        ; implicit-def: $vgpr26
                                        ; implicit-def: $vgpr8
                                        ; implicit-def: $vgpr2
                                        ; implicit-def: $vgpr32
                                        ; implicit-def: $vgpr14
                                        ; implicit-def: $vgpr10
                                        ; implicit-def: $vgpr28
                                        ; implicit-def: $vgpr16
                                        ; implicit-def: $vgpr4
                                        ; implicit-def: $vgpr30
                                        ; implicit-def: $vgpr24
                                        ; implicit-def: $vgpr22
	s_xor_b64 exec, exec, s[0:1]
	s_cbranch_execz .LBB0_13
; %bb.12:
	v_mad_u64_u32 v[2:3], s[2:3], s8, v34, 0
	v_mov_b32_e32 v4, v3
	v_mad_u64_u32 v[4:5], s[2:3], s9, v34, v[4:5]
	v_add_u32_e32 v7, 0xd8, v34
	v_mov_b32_e32 v3, v4
	v_mad_u64_u32 v[4:5], s[2:3], s8, v7, 0
	v_mov_b32_e32 v6, v5
	v_mad_u64_u32 v[6:7], s[2:3], s9, v7, v[6:7]
	v_add_u32_e32 v9, 0x1b0, v34
	v_mov_b32_e32 v5, v6
	v_mad_u64_u32 v[6:7], s[2:3], s8, v9, 0
	v_mov_b32_e32 v8, v7
	v_mad_u64_u32 v[8:9], s[2:3], s9, v9, v[8:9]
	v_add_u32_e32 v11, 0x288, v34
	v_mov_b32_e32 v7, v8
	v_mad_u64_u32 v[8:9], s[2:3], s8, v11, 0
	v_mov_b32_e32 v10, v9
	v_mad_u64_u32 v[10:11], s[2:3], s9, v11, v[10:11]
	v_lshl_add_u64 v[2:3], v[2:3], 3, v[0:1]
	v_lshl_add_u64 v[4:5], v[4:5], 3, v[0:1]
	v_mov_b32_e32 v9, v10
	v_lshl_add_u64 v[6:7], v[6:7], 3, v[0:1]
	v_lshl_add_u64 v[8:9], v[8:9], 3, v[0:1]
	global_load_dwordx2 v[10:11], v[2:3], off
	global_load_dwordx2 v[24:25], v[4:5], off
	global_load_dwordx2 v[30:31], v[6:7], off
	global_load_dwordx2 v[20:21], v[8:9], off
	v_add_u32_e32 v5, 0x360, v34
	v_mad_u64_u32 v[2:3], s[2:3], s8, v5, 0
	v_mov_b32_e32 v4, v3
	v_mad_u64_u32 v[4:5], s[2:3], s9, v5, v[4:5]
	v_add_u32_e32 v7, 0x438, v34
	v_mov_b32_e32 v3, v4
	v_mad_u64_u32 v[4:5], s[2:3], s8, v7, 0
	v_mov_b32_e32 v6, v5
	v_mad_u64_u32 v[6:7], s[2:3], s9, v7, v[6:7]
	v_mov_b32_e32 v5, v6
	v_add_u32_e32 v35, 0x6c, v34
	v_lshl_add_u64 v[6:7], v[4:5], 3, v[0:1]
	v_mad_u64_u32 v[4:5], s[2:3], s8, v35, 0
	v_mov_b32_e32 v8, v5
	v_mad_u64_u32 v[8:9], s[2:3], s9, v35, v[8:9]
	v_mov_b32_e32 v5, v8
	v_add_u32_e32 v13, 0x144, v34
	v_lshl_add_u64 v[8:9], v[4:5], 3, v[0:1]
	v_mad_u64_u32 v[4:5], s[2:3], s8, v13, 0
	v_mov_b32_e32 v12, v5
	v_mad_u64_u32 v[12:13], s[2:3], s9, v13, v[12:13]
	v_lshl_add_u64 v[2:3], v[2:3], 3, v[0:1]
	v_mov_b32_e32 v5, v12
	v_lshl_add_u64 v[12:13], v[4:5], 3, v[0:1]
	global_load_dwordx2 v[4:5], v[2:3], off
	global_load_dwordx2 v[28:29], v[6:7], off
	;; [unrolled: 1-line block ×4, first 2 shown]
	v_add_u32_e32 v7, 0x21c, v34
	v_mad_u64_u32 v[2:3], s[2:3], s8, v7, 0
	v_mov_b32_e32 v6, v3
	v_mad_u64_u32 v[6:7], s[2:3], s9, v7, v[6:7]
	v_add_u32_e32 v9, 0x2f4, v34
	v_mov_b32_e32 v3, v6
	v_mad_u64_u32 v[6:7], s[2:3], s8, v9, 0
	v_mov_b32_e32 v8, v7
	v_mad_u64_u32 v[8:9], s[2:3], s9, v9, v[8:9]
	v_mov_b32_e32 v7, v8
	v_lshl_add_u64 v[2:3], v[2:3], 3, v[0:1]
	v_lshl_add_u64 v[6:7], v[6:7], 3, v[0:1]
	global_load_dwordx2 v[32:33], v[2:3], off
	global_load_dwordx2 v[18:19], v[6:7], off
	v_add_u32_e32 v7, 0x3cc, v34
	v_mad_u64_u32 v[2:3], s[2:3], s8, v7, 0
	v_mov_b32_e32 v6, v3
	v_add_u32_e32 v3, 0x4a4, v34
	v_mad_u64_u32 v[8:9], s[2:3], s8, v3, 0
	v_mov_b32_e32 v12, v9
	v_mad_u64_u32 v[12:13], s[2:3], s9, v3, v[12:13]
	v_mov_b32_e32 v9, v12
	v_mad_u64_u32 v[6:7], s[2:3], s9, v7, v[6:7]
	v_lshl_add_u64 v[8:9], v[8:9], 3, v[0:1]
	v_mov_b32_e32 v3, v6
	global_load_dwordx2 v[26:27], v[8:9], off
	v_lshl_add_u64 v[2:3], v[2:3], 3, v[0:1]
	global_load_dwordx2 v[2:3], v[2:3], off
	s_waitcnt vmcnt(11)
	v_mov_b32_e32 v13, v11
	s_waitcnt vmcnt(10)
	v_mov_b32_e32 v22, v25
	;; [unrolled: 2-line block ×3, first 2 shown]
	v_mov_b32_e32 v21, v10
	s_waitcnt vmcnt(5)
	v_mov_b32_e32 v7, v17
	s_waitcnt vmcnt(4)
	;; [unrolled: 2-line block ×3, first 2 shown]
	v_mov_b32_e32 v6, v19
	v_mov_b32_e32 v19, v16
	;; [unrolled: 1-line block ×3, first 2 shown]
	s_waitcnt vmcnt(1)
	v_mov_b32_e32 v8, v27
.LBB0_13:
	s_or_b64 exec, exec, s[0:1]
	v_pk_add_f32 v[38:39], v[4:5], v[30:31]
	v_add_f32_e32 v9, v28, v20
	v_mul_f32_e32 v25, 0.5, v38
	v_fma_f32 v38, -0.5, v9, v24
	v_sub_f32_e32 v9, v12, v16
	v_pk_add_f32 v[40:41], v[30:31], v[4:5] neg_lo:[0,1] neg_hi:[0,1]
	v_mul_f32_e32 v42, 0x3f5db3d7, v9
	v_add_f32_e32 v9, v16, v12
	v_pk_add_f32 v[36:37], v[30:31], v[20:21] op_sel_hi:[0,1]
	v_mul_f32_e32 v29, 0x3f5db3d7, v41
	v_fma_f32 v44, -0.5, v9, v22
	v_sub_f32_e32 v9, v20, v28
	v_pk_add_f32 v[60:61], v[20:21], v[24:25]
	v_pk_add_f32 v[24:25], v[20:21], v[24:25] neg_lo:[0,1] neg_hi:[0,1]
	v_mul_f32_e32 v46, 0x3f5db3d7, v9
	v_pk_add_f32 v[60:61], v[60:61], v[28:29]
	v_mov_b32_e32 v36, v29
	v_pk_add_f32 v[28:29], v[24:25], v[28:29] neg_lo:[0,1] neg_hi:[0,1]
	v_mov_b32_e32 v24, v25
	v_mov_b32_e32 v25, v4
	v_mul_f32_e32 v23, 0.5, v39
	v_pk_add_f32 v[24:25], v[36:37], v[24:25]
	v_pk_add_f32 v[36:37], v[38:39], v[42:43] op_sel_hi:[0,0] neg_lo:[0,1] neg_hi:[0,1]
	v_pk_add_f32 v[38:39], v[38:39], v[42:43] op_sel_hi:[0,0]
	v_pk_add_f32 v[42:43], v[44:45], v[46:47] op_sel_hi:[0,0]
	v_pk_add_f32 v[44:45], v[44:45], v[46:47] op_sel_hi:[0,0] neg_lo:[0,1] neg_hi:[0,1]
	s_mov_b32 s2, 0.5
	s_mov_b32 s0, 0x3f5db3d7
	v_mov_b32_e32 v43, v45
	s_mov_b32 s3, -0.5
	v_add_f32_e32 v30, v31, v13
	s_waitcnt vmcnt(0)
	v_pk_add_f32 v[50:51], v[2:3], v[32:33]
	v_add_f32_e32 v31, v26, v18
	v_mov_b32_e32 v37, v39
	v_pk_mul_f32 v[46:47], v[42:43], s[0:1] op_sel_hi:[1,0]
	v_mul_f32_e32 v15, 0.5, v50
	v_fma_f32 v50, -0.5, v31, v14
	v_sub_f32_e32 v31, v6, v8
	v_pk_fma_f32 v[46:47], v[36:37], s[2:3], v[46:47] neg_lo:[0,0,1] neg_hi:[0,0,1]
	v_mul_f32_e32 v28, -0.5, v45
	v_pk_add_f32 v[48:49], v[32:33], v[18:19] op_sel_hi:[0,1]
	v_pk_add_f32 v[52:53], v[32:33], v[2:3] neg_lo:[0,1] neg_hi:[0,1]
	v_add_f32_e32 v32, v33, v7
	v_mul_f32_e32 v54, 0x3f5db3d7, v31
	v_add_f32_e32 v31, v8, v6
	v_mov_b32_e32 v61, v29
	v_mov_b32_e32 v33, v60
	v_fmac_f32_e32 v28, 0x3f5db3d7, v39
	v_mov_b32_e32 v38, v25
	v_mov_b32_e32 v39, v46
	v_mov_b32_e32 v4, v47
	v_fma_f32 v56, -0.5, v31, v10
	v_sub_f32_e32 v31, v18, v26
	v_mul_f32_e32 v37, 0.5, v42
	v_pk_add_f32 v[38:39], v[60:61], v[38:39]
	v_pk_add_f32 v[42:43], v[24:25], v[4:5]
	v_pk_add_f32 v[44:45], v[24:25], v[32:33] neg_lo:[0,1] neg_hi:[0,1]
	v_mov_b32_e32 v60, v29
	v_mov_b32_e32 v61, v24
	v_mul_f32_e32 v58, 0x3f5db3d7, v31
	v_mad_u32_u24 v21, v34, 24, 0
	v_pk_add_f32 v[24:25], v[60:61], v[46:47] neg_lo:[0,1] neg_hi:[0,1]
	v_mov_b32_e32 v43, v45
	v_mul_f32_e32 v27, 0x3f5db3d7, v53
	ds_write2_b64 v21, v[38:39], v[42:43] offset1:1
	ds_write_b64 v21, v[24:25] offset:16
	v_pk_add_f32 v[24:25], v[18:19], v[14:15]
	v_pk_add_f32 v[14:15], v[18:19], v[14:15] neg_lo:[0,1] neg_hi:[0,1]
	v_pk_add_f32 v[44:45], v[56:57], v[58:59] op_sel_hi:[0,0]
	v_pk_add_f32 v[46:47], v[56:57], v[58:59] op_sel_hi:[0,0] neg_lo:[0,1] neg_hi:[0,1]
	v_pk_add_f32 v[18:19], v[24:25], v[26:27]
	v_pk_add_f32 v[24:25], v[14:15], v[26:27] neg_lo:[0,1] neg_hi:[0,1]
	v_mov_b32_e32 v48, v27
	v_mov_b32_e32 v14, v15
	;; [unrolled: 1-line block ×3, first 2 shown]
	v_pk_add_f32 v[38:39], v[50:51], v[54:55] op_sel_hi:[0,0] neg_lo:[0,1] neg_hi:[0,1]
	v_pk_add_f32 v[42:43], v[50:51], v[54:55] op_sel_hi:[0,0]
	v_mov_b32_e32 v45, v47
	v_pk_add_f32 v[14:15], v[48:49], v[14:15]
	v_mov_b32_e32 v39, v43
	v_pk_mul_f32 v[48:49], v[44:45], s[0:1] op_sel_hi:[1,0]
	v_mul_f32_e32 v26, -0.5, v47
	v_pk_fma_f32 v[48:49], v[38:39], s[2:3], v[48:49] neg_lo:[0,0,1] neg_hi:[0,0,1]
	v_mul_f32_e32 v11, 0.5, v51
	v_mov_b32_e32 v19, v25
	v_mov_b32_e32 v27, v18
	v_fmac_f32_e32 v26, 0x3f5db3d7, v43
	v_mov_b32_e32 v42, v15
	v_mov_b32_e32 v43, v48
	;; [unrolled: 1-line block ×3, first 2 shown]
	v_pk_add_f32 v[50:51], v[12:13], v[22:23]
	v_pk_add_f32 v[12:13], v[12:13], v[22:23] neg_lo:[0,1] neg_hi:[0,1]
	v_mul_f32_e32 v17, 0x3f5db3d7, v40
	v_mul_f32_e32 v31, 0x3f5db3d7, v36
	v_mul_f32_e32 v39, 0.5, v44
	v_pk_add_f32 v[18:19], v[18:19], v[42:43]
	v_pk_add_f32 v[42:43], v[14:15], v[2:3]
	v_pk_add_f32 v[44:45], v[14:15], v[26:27] neg_lo:[0,1] neg_hi:[0,1]
	v_mov_b32_e32 v51, v13
	v_mov_b32_e32 v36, v5
	v_mad_i32_i24 v20, v35, 24, 0
	v_mov_b32_e32 v24, v25
	v_mov_b32_e32 v25, v14
	;; [unrolled: 1-line block ×3, first 2 shown]
	s_movk_i32 s1, 0xffec
	v_fmac_f32_e32 v13, 0xbf5db3d7, v40
	v_pk_add_f32 v[16:17], v[16:17], v[50:51]
	v_pk_add_f32 v[22:23], v[36:37], v[30:31]
	v_pk_add_f32 v[14:15], v[24:25], v[48:49] neg_lo:[0,1] neg_hi:[0,1]
	ds_write2_b64 v20, v[18:19], v[42:43] offset1:1
	ds_write_b64 v20, v[14:15] offset:16
	v_mad_i32_i24 v18, v34, s1, v21
	v_mov_b32_e32 v12, v23
	v_mov_b32_e32 v36, v13
	;; [unrolled: 1-line block ×5, first 2 shown]
	v_add_u32_e32 v4, 0x400, v18
	v_add_u32_e32 v25, 0x800, v18
	;; [unrolled: 1-line block ×4, first 2 shown]
	v_mad_i32_i24 v2, v35, s1, v20
	v_pk_add_f32 v[12:13], v[40:41], v[12:13] neg_lo:[0,1] neg_hi:[0,1]
	s_waitcnt lgkmcnt(0)
	s_barrier
	ds_read2_b32 v[14:15], v18 offset1:216
	ds_read2_b32 v[42:43], v4 offset0:68 offset1:176
	ds_read2_b32 v[44:45], v25 offset0:28 offset1:136
	;; [unrolled: 1-line block ×4, first 2 shown]
	ds_read_b32 v53, v2
	ds_read_b32 v54, v18 offset:4752
	s_waitcnt lgkmcnt(0)
	s_barrier
	ds_write_b64 v21, v[12:13] offset:16
	v_pk_add_f32 v[12:13], v[6:7], v[10:11]
	v_pk_add_f32 v[6:7], v[6:7], v[10:11] neg_lo:[0,1] neg_hi:[0,1]
	s_movk_i32 s1, 0xab
	v_mul_f32_e32 v9, 0x3f5db3d7, v52
	v_mul_f32_e32 v33, 0x3f5db3d7, v38
	v_mov_b32_e32 v37, v22
	v_mov_b32_e32 v29, v16
	;; [unrolled: 1-line block ×4, first 2 shown]
	v_mul_lo_u16_sdwa v3, v34, s1 dst_sel:DWORD dst_unused:UNUSED_PAD src0_sel:BYTE_0 src1_sel:DWORD
	v_pk_add_f32 v[30:31], v[16:17], v[22:23]
	v_pk_add_f32 v[36:37], v[36:37], v[28:29]
	v_pk_add_f32 v[16:17], v[22:23], v[16:17] op_sel:[1,1] op_sel_hi:[0,0] neg_lo:[0,1] neg_hi:[0,1]
	v_fmac_f32_e32 v7, 0xbf5db3d7, v52
	v_pk_add_f32 v[8:9], v[8:9], v[12:13]
	v_pk_add_f32 v[10:11], v[38:39], v[32:33]
	v_lshrrev_b16_e32 v3, 10, v3
	v_mov_b32_e32 v37, v17
	v_mov_b32_e32 v6, v11
	;; [unrolled: 1-line block ×8, first 2 shown]
	v_mul_lo_u16_e32 v5, 6, v3
	v_pk_add_f32 v[12:13], v[8:9], v[10:11]
	v_pk_add_f32 v[16:17], v[16:17], v[26:27]
	v_pk_add_f32 v[8:9], v[10:11], v[8:9] op_sel:[1,1] op_sel_hi:[0,0] neg_lo:[0,1] neg_hi:[0,1]
	v_pk_add_f32 v[6:7], v[22:23], v[6:7] neg_lo:[0,1] neg_hi:[0,1]
	v_sub_u16_e32 v5, v34, v5
	v_mov_b32_e32 v52, 5
	ds_write2_b64 v21, v[30:31], v[36:37] offset1:1
	v_mov_b32_e32 v17, v9
	ds_write_b64 v20, v[6:7] offset:16
	v_mul_u32_u24_sdwa v6, v5, v52 dst_sel:DWORD dst_unused:UNUSED_PAD src0_sel:BYTE_0 src1_sel:DWORD
	ds_write2_b64 v20, v[12:13], v[16:17] offset1:1
	v_lshlrev_b32_e32 v16, 3, v6
	s_waitcnt lgkmcnt(0)
	s_barrier
	global_load_dwordx4 v[6:9], v16, s[4:5]
	global_load_dwordx4 v[10:13], v16, s[4:5] offset:16
	v_mul_lo_u16_sdwa v22, v35, s1 dst_sel:DWORD dst_unused:UNUSED_PAD src0_sel:BYTE_0 src1_sel:DWORD
	v_lshrrev_b16_e32 v55, 10, v22
	global_load_dwordx2 v[16:17], v16, s[4:5] offset:32
	v_mul_lo_u16_e32 v22, 6, v55
	v_sub_u16_e32 v56, v35, v22
	v_mul_u32_u24_sdwa v22, v56, v52 dst_sel:DWORD dst_unused:UNUSED_PAD src0_sel:BYTE_0 src1_sel:DWORD
	v_lshlrev_b32_e32 v36, 3, v22
	global_load_dwordx4 v[26:29], v36, s[4:5]
	global_load_dwordx4 v[30:33], v36, s[4:5] offset:16
	global_load_dwordx2 v[22:23], v36, s[4:5] offset:32
	ds_read2_b32 v[36:37], v18 offset1:216
	ds_read2_b32 v[38:39], v4 offset0:68 offset1:176
	ds_read2_b32 v[40:41], v25 offset0:28 offset1:136
	;; [unrolled: 1-line block ×3, first 2 shown]
	v_mul_u32_u24_e32 v3, 0x90, v3
	s_waitcnt vmcnt(5) lgkmcnt(3)
	v_mul_f32_e32 v57, v37, v7
	v_mul_f32_e32 v7, v15, v7
	v_fmac_f32_e32 v57, v15, v6
	v_fma_f32 v15, v37, v6, -v7
	s_waitcnt lgkmcnt(2)
	v_mul_f32_e32 v37, v39, v9
	v_mul_f32_e32 v6, v43, v9
	v_fmac_f32_e32 v37, v43, v8
	v_fma_f32 v8, v39, v8, -v6
	s_waitcnt vmcnt(4) lgkmcnt(1)
	v_mul_f32_e32 v9, v41, v11
	v_mul_f32_e32 v6, v45, v11
	v_fmac_f32_e32 v9, v45, v10
	v_fma_f32 v10, v41, v10, -v6
	s_waitcnt lgkmcnt(0)
	v_mul_f32_e32 v11, v51, v13
	v_mul_f32_e32 v6, v47, v13
	v_fmac_f32_e32 v11, v47, v12
	v_fma_f32 v12, v51, v12, -v6
	ds_read2_b32 v[6:7], v19 offset0:76 offset1:184
	s_waitcnt vmcnt(2)
	v_mul_f32_e32 v39, v38, v27
	v_mul_f32_e32 v27, v42, v27
	v_fmac_f32_e32 v39, v42, v26
	v_fma_f32 v26, v38, v26, -v27
	s_waitcnt lgkmcnt(0)
	v_mul_f32_e32 v13, v7, v17
	v_mul_f32_e32 v17, v49, v17
	v_fmac_f32_e32 v13, v49, v16
	v_fma_f32 v7, v7, v16, -v17
	ds_read_b32 v16, v2
	ds_read_b32 v17, v18 offset:4752
	v_mul_f32_e32 v27, v40, v29
	v_mul_f32_e32 v29, v44, v29
	v_fmac_f32_e32 v27, v44, v28
	v_fma_f32 v28, v40, v28, -v29
	s_waitcnt vmcnt(1)
	v_mul_f32_e32 v29, v50, v31
	v_mul_f32_e32 v31, v46, v31
	v_fmac_f32_e32 v29, v46, v30
	v_fma_f32 v30, v50, v30, -v31
	v_mul_f32_e32 v31, v6, v33
	v_mul_f32_e32 v33, v48, v33
	v_fmac_f32_e32 v31, v48, v32
	v_fma_f32 v6, v6, v32, -v33
	s_waitcnt vmcnt(0) lgkmcnt(0)
	v_mul_f32_e32 v32, v17, v23
	v_mul_f32_e32 v23, v54, v23
	v_fma_f32 v17, v17, v22, -v23
	v_add_f32_e32 v23, v37, v11
	v_fmac_f32_e32 v32, v54, v22
	v_add_f32_e32 v22, v14, v37
	v_fmac_f32_e32 v14, -0.5, v23
	v_sub_f32_e32 v23, v8, v12
	v_fmamk_f32 v33, v23, 0xbf5db3d7, v14
	v_fmac_f32_e32 v14, 0x3f5db3d7, v23
	v_add_f32_e32 v23, v36, v8
	v_add_f32_e32 v8, v8, v12
	v_add_f32_e32 v23, v23, v12
	v_fmac_f32_e32 v36, -0.5, v8
	v_sub_f32_e32 v8, v37, v11
	v_add_f32_e32 v12, v9, v13
	v_add_f32_e32 v22, v22, v11
	v_fmamk_f32 v11, v8, 0x3f5db3d7, v36
	v_fmac_f32_e32 v36, 0xbf5db3d7, v8
	v_add_f32_e32 v8, v57, v9
	v_fmac_f32_e32 v57, -0.5, v12
	v_sub_f32_e32 v12, v10, v7
	v_fmamk_f32 v37, v12, 0xbf5db3d7, v57
	v_fmac_f32_e32 v57, 0x3f5db3d7, v12
	v_add_f32_e32 v12, v15, v10
	v_add_f32_e32 v12, v12, v7
	v_add_f32_e32 v7, v10, v7
	v_fmac_f32_e32 v15, -0.5, v7
	v_sub_f32_e32 v7, v9, v13
	v_fmamk_f32 v9, v7, 0x3f5db3d7, v15
	v_fmac_f32_e32 v15, 0xbf5db3d7, v7
	v_add_f32_e32 v8, v8, v13
	v_mul_f32_e32 v10, 0xbf5db3d7, v9
	v_mul_f32_e32 v38, 0xbf5db3d7, v15
	v_mul_f32_e32 v9, 0.5, v9
	v_mul_f32_e32 v15, -0.5, v15
	v_add_f32_e32 v7, v22, v8
	v_fmac_f32_e32 v9, 0x3f5db3d7, v37
	v_fmac_f32_e32 v15, 0x3f5db3d7, v57
	v_sub_f32_e32 v8, v22, v8
	v_add_f32_e32 v22, v27, v31
	v_add_f32_e32 v42, v11, v9
	v_add_f32_e32 v43, v36, v15
	v_sub_f32_e32 v9, v11, v9
	v_sub_f32_e32 v11, v36, v15
	v_add_f32_e32 v15, v53, v27
	v_fmac_f32_e32 v53, -0.5, v22
	v_sub_f32_e32 v22, v28, v6
	v_add_f32_e32 v41, v23, v12
	v_sub_f32_e32 v12, v23, v12
	v_fmamk_f32 v23, v22, 0xbf5db3d7, v53
	v_fmac_f32_e32 v53, 0x3f5db3d7, v22
	v_add_f32_e32 v22, v16, v28
	v_add_f32_e32 v22, v22, v6
	;; [unrolled: 1-line block ×3, first 2 shown]
	v_fmac_f32_e32 v16, -0.5, v6
	v_sub_f32_e32 v6, v27, v31
	v_add_f32_e32 v28, v29, v32
	v_fmamk_f32 v27, v6, 0x3f5db3d7, v16
	v_fmac_f32_e32 v16, 0xbf5db3d7, v6
	v_add_f32_e32 v6, v39, v29
	v_fmac_f32_e32 v39, -0.5, v28
	v_sub_f32_e32 v28, v30, v17
	v_add_f32_e32 v15, v15, v31
	v_fmamk_f32 v31, v28, 0xbf5db3d7, v39
	v_fmac_f32_e32 v39, 0x3f5db3d7, v28
	v_add_f32_e32 v28, v26, v30
	v_add_f32_e32 v28, v28, v17
	;; [unrolled: 1-line block ×3, first 2 shown]
	v_fmac_f32_e32 v26, -0.5, v17
	v_sub_f32_e32 v17, v29, v32
	v_fmac_f32_e32 v10, 0.5, v37
	v_fmamk_f32 v29, v17, 0x3f5db3d7, v26
	v_fmac_f32_e32 v26, 0xbf5db3d7, v17
	v_add_f32_e32 v13, v33, v10
	v_sub_f32_e32 v10, v33, v10
	v_mul_f32_e32 v30, 0xbf5db3d7, v29
	v_mul_f32_e32 v33, 0xbf5db3d7, v26
	v_add_f32_e32 v6, v6, v32
	v_fmac_f32_e32 v30, 0.5, v31
	v_fmac_f32_e32 v33, -0.5, v39
	v_add_f32_e32 v17, v15, v6
	v_add_f32_e32 v32, v23, v30
	;; [unrolled: 1-line block ×3, first 2 shown]
	v_sub_f32_e32 v6, v15, v6
	v_sub_f32_e32 v15, v23, v30
	;; [unrolled: 1-line block ×3, first 2 shown]
	v_mov_b32_e32 v53, 2
	v_lshlrev_b32_sdwa v5, v53, v5 dst_sel:DWORD dst_unused:UNUSED_PAD src0_sel:DWORD src1_sel:BYTE_0
	v_fmac_f32_e32 v38, -0.5, v57
	v_add3_u32 v3, 0, v3, v5
	v_add_f32_e32 v40, v14, v38
	v_sub_f32_e32 v14, v14, v38
	v_mul_f32_e32 v29, 0.5, v29
	v_mul_f32_e32 v26, -0.5, v26
	s_barrier
	ds_write2_b32 v3, v7, v13 offset1:6
	ds_write2_b32 v3, v40, v8 offset0:12 offset1:18
	ds_write2_b32 v3, v10, v14 offset0:24 offset1:30
	v_mul_u32_u24_e32 v5, 0x90, v55
	v_lshlrev_b32_sdwa v7, v53, v56 dst_sel:DWORD dst_unused:UNUSED_PAD src0_sel:DWORD src1_sel:BYTE_0
	v_fmac_f32_e32 v29, 0x3f5db3d7, v31
	v_fmac_f32_e32 v26, 0x3f5db3d7, v39
	v_add3_u32 v5, 0, v5, v7
	v_add_f32_e32 v44, v22, v28
	v_add_f32_e32 v45, v27, v29
	;; [unrolled: 1-line block ×3, first 2 shown]
	v_sub_f32_e32 v28, v22, v28
	v_sub_f32_e32 v27, v27, v29
	v_sub_f32_e32 v16, v16, v26
	ds_write2_b32 v5, v17, v32 offset1:6
	ds_write2_b32 v5, v36, v6 offset0:12 offset1:18
	ds_write2_b32 v5, v15, v23 offset0:24 offset1:30
	s_waitcnt lgkmcnt(0)
	s_barrier
	ds_read2_b32 v[22:23], v18 offset1:216
	ds_read2_b32 v[30:31], v4 offset0:68 offset1:176
	ds_read2_b32 v[32:33], v25 offset0:28 offset1:136
	;; [unrolled: 1-line block ×4, first 2 shown]
	ds_read_b32 v54, v2
	ds_read_b32 v55, v18 offset:4752
	s_waitcnt lgkmcnt(0)
	s_barrier
	ds_write2_b32 v3, v41, v42 offset1:6
	ds_write2_b32 v3, v43, v12 offset0:12 offset1:18
	ds_write2_b32 v3, v9, v11 offset0:24 offset1:30
	ds_write2_b32 v5, v44, v45 offset1:6
	ds_write2_b32 v5, v46, v28 offset0:12 offset1:18
	ds_write2_b32 v5, v27, v16 offset0:24 offset1:30
	v_mov_b32_e32 v3, 57
	v_mul_lo_u16_sdwa v5, v34, v3 dst_sel:DWORD dst_unused:UNUSED_PAD src0_sel:BYTE_0 src1_sel:DWORD
	v_lshrrev_b16_e32 v5, 11, v5
	v_mul_lo_u16_e32 v6, 36, v5
	v_sub_u16_e32 v56, v34, v6
	v_mul_u32_u24_sdwa v6, v56, v52 dst_sel:DWORD dst_unused:UNUSED_PAD src0_sel:BYTE_0 src1_sel:DWORD
	v_lshlrev_b32_e32 v14, 3, v6
	s_waitcnt lgkmcnt(0)
	s_barrier
	global_load_dwordx4 v[6:9], v14, s[4:5] offset:240
	global_load_dwordx4 v[10:13], v14, s[4:5] offset:256
	v_mul_lo_u16_sdwa v3, v35, v3 dst_sel:DWORD dst_unused:UNUSED_PAD src0_sel:BYTE_0 src1_sel:DWORD
	v_lshrrev_b16_e32 v3, 11, v3
	global_load_dwordx2 v[40:41], v14, s[4:5] offset:272
	v_mul_lo_u16_e32 v14, 36, v3
	v_sub_u16_e32 v57, v35, v14
	v_mul_u32_u24_sdwa v14, v57, v52 dst_sel:DWORD dst_unused:UNUSED_PAD src0_sel:BYTE_0 src1_sel:DWORD
	v_lshlrev_b32_e32 v44, 3, v14
	global_load_dwordx4 v[14:17], v44, s[4:5] offset:240
	global_load_dwordx4 v[26:29], v44, s[4:5] offset:256
	global_load_dwordx2 v[42:43], v44, s[4:5] offset:272
	ds_read2_b32 v[44:45], v18 offset1:216
	ds_read2_b32 v[46:47], v4 offset0:68 offset1:176
	ds_read2_b32 v[48:49], v25 offset0:28 offset1:136
	;; [unrolled: 1-line block ×3, first 2 shown]
	v_mul_u32_u24_e32 v5, 0x360, v5
	v_mul_u32_u24_e32 v3, 0x360, v3
	s_waitcnt vmcnt(5) lgkmcnt(3)
	v_mul_f32_e32 v52, v45, v7
	v_mul_f32_e32 v7, v23, v7
	v_fmac_f32_e32 v52, v23, v6
	v_fma_f32 v23, v45, v6, -v7
	s_waitcnt lgkmcnt(2)
	v_mul_f32_e32 v45, v47, v9
	v_mul_f32_e32 v6, v31, v9
	v_fmac_f32_e32 v45, v31, v8
	v_fma_f32 v8, v47, v8, -v6
	s_waitcnt vmcnt(4) lgkmcnt(1)
	v_mul_f32_e32 v9, v49, v11
	v_mul_f32_e32 v6, v33, v11
	v_fmac_f32_e32 v9, v33, v10
	v_fma_f32 v10, v49, v10, -v6
	s_waitcnt lgkmcnt(0)
	v_mul_f32_e32 v11, v51, v13
	v_mul_f32_e32 v6, v37, v13
	v_fmac_f32_e32 v11, v37, v12
	v_fma_f32 v12, v51, v12, -v6
	ds_read2_b32 v[6:7], v19 offset0:76 offset1:184
	s_waitcnt vmcnt(3)
	v_mul_f32_e32 v31, v39, v41
	s_waitcnt vmcnt(2)
	v_mul_f32_e32 v37, v46, v15
	v_mul_f32_e32 v15, v30, v15
	v_fmac_f32_e32 v37, v30, v14
	s_waitcnt lgkmcnt(0)
	v_mul_f32_e32 v13, v7, v41
	v_fma_f32 v7, v7, v40, -v31
	ds_read_b32 v31, v2
	ds_read_b32 v33, v18 offset:4752
	v_fma_f32 v14, v46, v14, -v15
	v_mul_f32_e32 v15, v48, v17
	v_mul_f32_e32 v17, v32, v17
	v_fmac_f32_e32 v15, v32, v16
	v_fma_f32 v16, v48, v16, -v17
	s_waitcnt vmcnt(1)
	v_mul_f32_e32 v17, v50, v27
	v_mul_f32_e32 v27, v36, v27
	v_fmac_f32_e32 v17, v36, v26
	v_fma_f32 v26, v50, v26, -v27
	v_mul_f32_e32 v27, v6, v29
	v_mul_f32_e32 v29, v38, v29
	v_add_f32_e32 v32, v45, v11
	v_fma_f32 v6, v6, v28, -v29
	s_waitcnt vmcnt(0)
	v_mul_f32_e32 v29, v55, v43
	v_add_f32_e32 v30, v22, v45
	v_fmac_f32_e32 v22, -0.5, v32
	v_sub_f32_e32 v32, v8, v12
	v_fmac_f32_e32 v13, v39, v40
	v_fmac_f32_e32 v27, v38, v28
	s_waitcnt lgkmcnt(0)
	v_mul_f32_e32 v28, v33, v43
	v_fma_f32 v29, v33, v42, -v29
	v_fmamk_f32 v33, v32, 0xbf5db3d7, v22
	v_fmac_f32_e32 v22, 0x3f5db3d7, v32
	v_add_f32_e32 v32, v44, v8
	v_add_f32_e32 v8, v8, v12
	v_add_f32_e32 v32, v32, v12
	v_fmac_f32_e32 v44, -0.5, v8
	v_sub_f32_e32 v8, v45, v11
	v_add_f32_e32 v12, v9, v13
	v_add_f32_e32 v30, v30, v11
	v_fmamk_f32 v11, v8, 0x3f5db3d7, v44
	v_fmac_f32_e32 v44, 0xbf5db3d7, v8
	v_add_f32_e32 v8, v52, v9
	v_fmac_f32_e32 v52, -0.5, v12
	v_sub_f32_e32 v12, v10, v7
	v_fmamk_f32 v36, v12, 0xbf5db3d7, v52
	v_fmac_f32_e32 v52, 0x3f5db3d7, v12
	v_add_f32_e32 v12, v23, v10
	v_add_f32_e32 v12, v12, v7
	;; [unrolled: 1-line block ×3, first 2 shown]
	v_fmac_f32_e32 v23, -0.5, v7
	v_sub_f32_e32 v7, v9, v13
	v_fmamk_f32 v9, v7, 0x3f5db3d7, v23
	v_mul_f32_e32 v10, 0xbf5db3d7, v9
	v_mul_f32_e32 v9, 0.5, v9
	v_add_f32_e32 v8, v8, v13
	v_fmac_f32_e32 v9, 0x3f5db3d7, v36
	v_fmac_f32_e32 v23, 0xbf5db3d7, v7
	v_add_f32_e32 v7, v30, v8
	v_fmac_f32_e32 v10, 0.5, v36
	v_add_f32_e32 v40, v32, v12
	v_add_f32_e32 v36, v11, v9
	v_sub_f32_e32 v8, v30, v8
	v_sub_f32_e32 v30, v32, v12
	v_sub_f32_e32 v32, v11, v9
	v_add_f32_e32 v11, v15, v27
	v_add_f32_e32 v9, v54, v15
	v_fmac_f32_e32 v54, -0.5, v11
	v_sub_f32_e32 v11, v16, v6
	v_fmamk_f32 v12, v11, 0xbf5db3d7, v54
	v_fmac_f32_e32 v54, 0x3f5db3d7, v11
	v_add_f32_e32 v11, v31, v16
	v_fmac_f32_e32 v28, v55, v42
	v_add_f32_e32 v11, v11, v6
	v_add_f32_e32 v6, v16, v6
	v_fmac_f32_e32 v31, -0.5, v6
	v_sub_f32_e32 v6, v15, v27
	v_add_f32_e32 v16, v17, v28
	v_fmamk_f32 v15, v6, 0x3f5db3d7, v31
	v_fmac_f32_e32 v31, 0xbf5db3d7, v6
	v_add_f32_e32 v6, v37, v17
	v_fmac_f32_e32 v37, -0.5, v16
	v_sub_f32_e32 v16, v26, v29
	v_add_f32_e32 v9, v9, v27
	v_fmamk_f32 v27, v16, 0xbf5db3d7, v37
	v_fmac_f32_e32 v37, 0x3f5db3d7, v16
	v_add_f32_e32 v16, v14, v26
	v_add_f32_e32 v26, v26, v29
	v_fmac_f32_e32 v14, -0.5, v26
	v_sub_f32_e32 v17, v17, v28
	v_fmamk_f32 v26, v17, 0x3f5db3d7, v14
	v_fmac_f32_e32 v14, 0xbf5db3d7, v17
	v_add_f32_e32 v13, v33, v10
	v_sub_f32_e32 v10, v33, v10
	v_add_f32_e32 v6, v6, v28
	v_add_f32_e32 v16, v16, v29
	v_mul_f32_e32 v28, 0xbf5db3d7, v26
	v_mul_f32_e32 v33, 0xbf5db3d7, v14
	v_mul_f32_e32 v14, -0.5, v14
	v_fmac_f32_e32 v28, 0.5, v27
	v_add_f32_e32 v42, v11, v16
	v_fmac_f32_e32 v14, 0x3f5db3d7, v37
	v_sub_f32_e32 v16, v11, v16
	v_lshlrev_b32_sdwa v11, v53, v56 dst_sel:DWORD dst_unused:UNUSED_PAD src0_sel:DWORD src1_sel:BYTE_0
	v_mul_f32_e32 v38, 0xbf5db3d7, v23
	v_add_f32_e32 v17, v9, v6
	v_add_f32_e32 v29, v12, v28
	v_fmac_f32_e32 v33, -0.5, v37
	v_mul_f32_e32 v26, 0.5, v26
	v_add_f32_e32 v37, v31, v14
	v_sub_f32_e32 v6, v9, v6
	v_sub_f32_e32 v9, v12, v28
	;; [unrolled: 1-line block ×3, first 2 shown]
	v_add3_u32 v31, 0, v5, v11
	v_lshlrev_b32_sdwa v5, v53, v57 dst_sel:DWORD dst_unused:UNUSED_PAD src0_sel:DWORD src1_sel:BYTE_0
	v_fmac_f32_e32 v38, -0.5, v52
	v_fmac_f32_e32 v26, 0x3f5db3d7, v27
	v_sub_f32_e32 v12, v54, v33
	v_add3_u32 v3, 0, v3, v5
	v_add_f32_e32 v39, v22, v38
	v_sub_f32_e32 v22, v22, v38
	v_add_f32_e32 v38, v54, v33
	v_add_f32_e32 v27, v15, v26
	v_sub_f32_e32 v26, v15, v26
	s_barrier
	ds_write2_b32 v31, v7, v13 offset1:36
	ds_write2_b32 v31, v39, v8 offset0:72 offset1:108
	ds_write2_b32 v31, v10, v22 offset0:144 offset1:180
	ds_write2_b32 v3, v17, v29 offset1:36
	ds_write2_b32 v3, v38, v6 offset0:72 offset1:108
	ds_write2_b32 v3, v9, v12 offset0:144 offset1:180
	s_waitcnt lgkmcnt(0)
	s_barrier
	ds_read2_b32 v[14:15], v18 offset1:216
	ds_read2_b32 v[4:5], v4 offset0:68 offset1:176
	ds_read2_b32 v[12:13], v25 offset0:28 offset1:136
	;; [unrolled: 1-line block ×4, first 2 shown]
	ds_read_b32 v2, v2
	ds_read_b32 v6, v18 offset:4752
	v_mul_f32_e32 v23, -0.5, v23
	v_fmac_f32_e32 v23, 0x3f5db3d7, v52
	v_add_f32_e32 v41, v44, v23
	v_sub_f32_e32 v23, v44, v23
	s_waitcnt lgkmcnt(0)
	s_barrier
	ds_write2_b32 v31, v40, v36 offset1:36
	ds_write2_b32 v31, v41, v30 offset0:72 offset1:108
	ds_write2_b32 v31, v32, v23 offset0:144 offset1:180
	ds_write2_b32 v3, v42, v27 offset1:36
	ds_write2_b32 v3, v37, v16 offset0:72 offset1:108
	ds_write2_b32 v3, v26, v28 offset0:144 offset1:180
	s_waitcnt lgkmcnt(0)
	s_barrier
	s_and_saveexec_b64 s[6:7], vcc
	s_cbranch_execz .LBB0_15
; %bb.14:
	v_mul_u32_u24_e32 v3, 5, v34
	v_lshlrev_b32_e32 v3, 3, v3
	global_load_dwordx4 v[22:25], v3, s[4:5] offset:1696
	global_load_dwordx4 v[26:29], v3, s[4:5] offset:1680
	global_load_dwordx2 v[18:19], v3, s[4:5] offset:1712
	v_mul_i32_i24_e32 v3, 0xffffffec, v34
	v_mov_b32_e32 v32, v5
	v_mov_b32_e32 v36, v5
	v_add_u32_e32 v5, v21, v3
	v_mul_i32_i24_e32 v16, 5, v35
	v_mov_b32_e32 v17, 0
	v_mov_b32_e32 v46, v15
	v_add_u32_e32 v15, 0xa00, v5
	v_lshl_add_u64 v[48:49], v[16:17], 3, s[4:5]
	ds_read2_b32 v[16:17], v15 offset0:116 offset1:224
	ds_read2_b32 v[50:51], v5 offset1:216
	v_add_u32_e32 v3, 0x800, v5
	v_mov_b32_e32 v42, v13
	v_mov_b32_e32 v44, v13
	v_add_u32_e32 v13, 0x400, v5
	global_load_dwordx2 v[52:53], v[48:49], off offset:1712
	ds_read2_b32 v[54:55], v3 offset0:28 offset1:136
	ds_read2_b32 v[56:57], v13 offset0:68 offset1:176
	s_waitcnt lgkmcnt(3)
	v_mov_b32_e32 v58, v17
	v_mov_b32_e32 v38, v9
	v_mov_b32_e32 v40, v9
	v_add_u32_e32 v9, 0xe00, v5
	v_mad_u64_u32 v[30:31], s[6:7], s8, v34, 0
	v_add_u32_e32 v7, 0xd8, v34
	v_add_u32_e32 v62, 0x1b0, v34
	v_mad_u64_u32 v[60:61], s[4:5], s8, v62, 0
	v_add_u32_e32 v63, 0x288, v34
	v_add_u32_e32 v3, 0x360, v34
	s_waitcnt lgkmcnt(2)
	v_mov_b32_e32 v15, v50
	s_movk_i32 s6, 0x438
	s_waitcnt vmcnt(3)
	v_pk_mul_f32 v[58:59], v[58:59], v[24:25] op_sel_hi:[0,1]
	v_pk_fma_f32 v[38:39], v[38:39], v[24:25], v[58:59] op_sel:[0,0,1] op_sel_hi:[1,1,0]
	v_pk_fma_f32 v[24:25], v[40:41], v[24:25], v[58:59] op_sel:[0,0,1] op_sel_hi:[0,1,0] neg_lo:[1,0,0] neg_hi:[1,0,0]
	s_waitcnt lgkmcnt(1)
	v_mov_b32_e32 v24, v55
	v_pk_mul_f32 v[40:41], v[24:25], v[22:23] op_sel_hi:[0,1]
	v_pk_fma_f32 v[42:43], v[42:43], v[22:23], v[40:41] op_sel:[0,0,1] op_sel_hi:[1,1,0]
	v_pk_fma_f32 v[22:23], v[44:45], v[22:23], v[40:41] op_sel:[0,0,1] op_sel_hi:[0,1,0] neg_lo:[1,0,0] neg_hi:[1,0,0]
	ds_read2_b32 v[40:41], v9 offset0:76 offset1:184
	v_mov_b32_e32 v22, v51
	s_waitcnt lgkmcnt(1)
	v_mov_b32_e32 v24, v57
	s_waitcnt vmcnt(2)
	v_pk_mul_f32 v[44:45], v[24:25], v[28:29] op_sel_hi:[0,1]
	v_pk_mul_f32 v[58:59], v[22:23], v[26:27] op_sel_hi:[0,1]
	v_pk_fma_f32 v[32:33], v[32:33], v[28:29], v[44:45] op_sel:[0,0,1] op_sel_hi:[1,1,0]
	v_pk_fma_f32 v[28:29], v[36:37], v[28:29], v[44:45] op_sel:[0,0,1] op_sel_hi:[0,1,0] neg_lo:[1,0,0] neg_hi:[1,0,0]
	v_pk_fma_f32 v[36:37], v[46:47], v[26:27], v[58:59] op_sel:[0,0,1] op_sel_hi:[0,1,0]
	v_pk_fma_f32 v[26:27], v[46:47], v[26:27], v[58:59] op_sel:[0,0,1] op_sel_hi:[0,1,0] neg_lo:[1,0,0] neg_hi:[1,0,0]
	s_waitcnt lgkmcnt(0)
	v_mov_b32_e32 v26, v41
	v_mov_b32_e32 v22, v11
	v_mov_b32_e32 v24, v11
	s_waitcnt vmcnt(1)
	v_pk_mul_f32 v[44:45], v[26:27], v[18:19] op_sel_hi:[0,1]
	v_pk_fma_f32 v[46:47], v[22:23], v[18:19], v[44:45] op_sel:[0,0,1] op_sel_hi:[1,1,0]
	v_pk_fma_f32 v[18:19], v[24:25], v[18:19], v[44:45] op_sel:[0,0,1] op_sel_hi:[0,1,0] neg_lo:[1,0,0] neg_hi:[1,0,0]
	v_mov_b32_e32 v18, v31
	v_mad_u64_u32 v[44:45], s[4:5], s8, v7, 0
	v_mad_u64_u32 v[58:59], s[4:5], s9, v34, v[18:19]
	v_mov_b32_e32 v18, v45
	v_mov_b32_e32 v31, v58
	v_mad_u64_u32 v[58:59], s[4:5], s9, v7, v[18:19]
	v_mov_b32_e32 v18, v61
	v_mov_b32_e32 v45, v58
	v_mad_u64_u32 v[58:59], s[4:5], s9, v62, v[18:19]
	v_mov_b32_e32 v61, v58
	v_mad_u64_u32 v[58:59], s[4:5], s8, v63, 0
	;; [unrolled: 2-line block ×5, first 2 shown]
	v_add_u32_e32 v3, 0x438, v34
	v_mov_b32_e32 v63, v64
	v_mad_u64_u32 v[64:65], s[4:5], s8, v3, 0
	v_mov_b32_e32 v18, v65
	v_mov_b32_e32 v43, v23
	;; [unrolled: 1-line block ×3, first 2 shown]
	v_mad_u64_u32 v[66:67], s[4:5], s9, v3, v[18:19]
	v_mov_b32_e32 v33, v29
	v_mov_b32_e32 v39, v25
	;; [unrolled: 1-line block ×3, first 2 shown]
	v_pk_add_f32 v[18:19], v[42:43], v[46:47]
	v_pk_add_f32 v[24:25], v[32:33], v[38:39]
	v_mov_b32_e32 v37, v27
	v_fmac_f32_e32 v7, -0.5, v18
	v_fmac_f32_e32 v27, -0.5, v19
	v_pk_add_f32 v[18:19], v[42:43], v[46:47] neg_lo:[0,1] neg_hi:[0,1]
	v_mov_b32_e32 v65, v66
	v_pk_fma_f32 v[24:25], v[24:25], 0.5, v[14:15] op_sel_hi:[1,0,1] neg_lo:[1,0,0] neg_hi:[1,0,0]
	v_fmamk_f32 v26, v19, 0x3f5db3d7, v7
	v_fmac_f32_e32 v7, 0xbf5db3d7, v19
	v_fmamk_f32 v66, v18, 0xbf5db3d7, v27
	v_fmac_f32_e32 v27, 0x3f5db3d7, v18
	v_pk_add_f32 v[18:19], v[36:37], v[42:43]
	v_pk_add_f32 v[14:15], v[14:15], v[32:33]
	;; [unrolled: 1-line block ×3, first 2 shown]
	v_mul_i32_i24_e32 v3, 0xffffffec, v35
	v_pk_add_f32 v[14:15], v[14:15], v[38:39]
	v_pk_add_f32 v[28:29], v[32:33], v[38:39] neg_lo:[0,1] neg_hi:[0,1]
	v_add_u32_e32 v3, v20, v3
	v_lshl_add_u64 v[18:19], v[30:31], 3, v[0:1]
	v_pk_add_f32 v[20:21], v[14:15], v[36:37]
	v_pk_mul_f32 v[28:29], v[28:29], s[0:1] op_sel_hi:[1,0]
	ds_read_b32 v3, v3
	ds_read_b32 v42, v5 offset:4752
	global_store_dwordx2 v[18:19], v[20:21], off
	v_pk_add_f32 v[50:51], v[28:29], v[24:25] op_sel:[1,0] op_sel_hi:[0,1]
	v_pk_add_f32 v[28:29], v[24:25], v[28:29] op_sel:[0,1] op_sel_hi:[1,0] neg_lo:[0,1] neg_hi:[0,1]
	global_load_dwordx4 v[18:21], v[48:49], off offset:1696
	global_load_dwordx4 v[22:25], v[48:49], off offset:1680
	v_mul_f32_e32 v9, 0.5, v27
	v_mul_f32_e32 v11, 0xbf5db3d7, v27
	s_mov_b32 s1, s2
	v_add_u32_e32 v5, 0x6c, v34
	s_mov_b32 s4, s3
	s_mov_b32 s5, s0
	v_pk_mul_f32 v[48:49], v[66:67], s[0:1] op_sel_hi:[0,1]
	v_fmac_f32_e32 v9, 0x3f5db3d7, v7
	v_fmac_f32_e32 v11, 0.5, v7
	v_lshrrev_b32_e32 v7, 3, v5
	s_mov_b32 s2, 0x97b425f
	v_pk_fma_f32 v[26:27], v[26:27], s[4:5], v[48:49] op_sel_hi:[0,1,1] neg_lo:[0,0,1] neg_hi:[0,0,1]
	v_mov_b32_e32 v48, v50
	v_mov_b32_e32 v49, v29
	v_mul_hi_u32 v7, v7, s2
	v_lshl_add_u64 v[30:31], v[44:45], 3, v[0:1]
	v_lshl_add_u64 v[32:33], v[60:61], 3, v[0:1]
	v_pk_add_f32 v[14:15], v[14:15], v[36:37] neg_lo:[0,1] neg_hi:[0,1]
	v_sub_f32_e32 v37, v51, v9
	v_add_f32_e32 v29, v51, v9
	v_pk_add_f32 v[50:51], v[48:49], v[26:27] neg_lo:[0,1] neg_hi:[0,1]
	v_sub_f32_e32 v36, v28, v11
	v_add_f32_e32 v28, v28, v11
	v_pk_add_f32 v[26:27], v[48:49], v[26:27]
	v_mad_u32_u24 v5, v7, s6, v5
	v_lshl_add_u64 v[38:39], v[58:59], 3, v[0:1]
	v_lshl_add_u64 v[44:45], v[62:63], 3, v[0:1]
	;; [unrolled: 1-line block ×3, first 2 shown]
	global_store_dwordx2 v[30:31], v[28:29], off
	global_store_dwordx2 v[32:33], v[26:27], off
	;; [unrolled: 1-line block ×5, first 2 shown]
	v_mad_u64_u32 v[14:15], s[2:3], s8, v5, 0
	v_mov_b32_e32 v26, v15
	v_mad_u64_u32 v[26:27], s[2:3], s9, v5, v[26:27]
	v_add_u32_e32 v7, 0xd8, v5
	v_mov_b32_e32 v15, v26
	v_mad_u64_u32 v[26:27], s[2:3], s8, v7, 0
	v_mov_b32_e32 v28, v27
	v_mad_u64_u32 v[28:29], s[2:3], s9, v7, v[28:29]
	v_add_u32_e32 v7, 0x1b0, v5
	v_mov_b32_e32 v27, v28
	;; [unrolled: 5-line block ×5, first 2 shown]
	v_mad_u64_u32 v[34:35], s[2:3], s8, v5, 0
	v_mov_b32_e32 v36, v35
	v_mad_u64_u32 v[36:37], s[2:3], s9, v5, v[36:37]
	v_mov_b32_e32 v35, v36
	v_lshl_add_u64 v[14:15], v[14:15], 3, v[0:1]
	v_lshl_add_u64 v[26:27], v[26:27], 3, v[0:1]
	;; [unrolled: 1-line block ×6, first 2 shown]
	s_waitcnt vmcnt(6)
	v_pk_mul_f32 v[16:17], v[16:17], v[18:19] op_sel_hi:[0,1]
	s_waitcnt vmcnt(5)
	v_pk_mul_f32 v[34:35], v[54:55], v[24:25] op_sel_hi:[0,1]
	v_pk_fma_f32 v[36:37], v[12:13], v[24:25], v[34:35] op_sel:[0,0,1] op_sel_hi:[1,1,0]
	v_pk_fma_f32 v[12:13], v[12:13], v[24:25], v[34:35] op_sel:[0,0,1] op_sel_hi:[0,1,0] neg_lo:[1,0,0] neg_hi:[1,0,0]
	v_mov_b32_e32 v37, v13
	v_pk_mul_f32 v[12:13], v[40:41], v[20:21] op_sel_hi:[0,1]
	v_pk_fma_f32 v[24:25], v[10:11], v[20:21], v[12:13] op_sel:[0,0,1] op_sel_hi:[1,1,0]
	v_pk_fma_f32 v[10:11], v[10:11], v[20:21], v[12:13] op_sel:[0,0,1] op_sel_hi:[0,1,0] neg_lo:[1,0,0] neg_hi:[1,0,0]
	v_pk_fma_f32 v[34:35], v[8:9], v[18:19], v[16:17] op_sel:[0,0,1] op_sel_hi:[1,1,0]
	v_pk_fma_f32 v[8:9], v[8:9], v[18:19], v[16:17] op_sel:[0,0,1] op_sel_hi:[0,1,0] neg_lo:[1,0,0] neg_hi:[1,0,0]
	v_mov_b32_e32 v25, v11
	v_mov_b32_e32 v35, v9
	s_waitcnt lgkmcnt(0)
	v_pk_mul_f32 v[8:9], v[42:43], v[52:53] op_sel_hi:[0,1]
	v_pk_add_f32 v[10:11], v[36:37], v[24:25]
	v_pk_add_f32 v[12:13], v[36:37], v[24:25] neg_lo:[0,1] neg_hi:[0,1]
	v_pk_fma_f32 v[16:17], v[6:7], v[52:53], v[8:9] op_sel:[0,0,1] op_sel_hi:[1,1,0]
	v_pk_fma_f32 v[6:7], v[6:7], v[52:53], v[8:9] op_sel:[0,0,1] op_sel_hi:[0,1,0] neg_lo:[1,0,0] neg_hi:[1,0,0]
	v_pk_fma_f32 v[10:11], v[10:11], 0.5, v[2:3] op_sel_hi:[1,0,1] neg_lo:[1,0,0] neg_hi:[1,0,0]
	v_pk_mul_f32 v[12:13], v[12:13], s[0:1] op_sel_hi:[1,0]
	v_mov_b32_e32 v17, v7
	v_pk_mul_f32 v[8:9], v[56:57], v[22:23] op_sel_hi:[0,1]
	v_pk_add_f32 v[20:21], v[12:13], v[10:11] op_sel:[1,0] op_sel_hi:[0,1]
	v_pk_add_f32 v[10:11], v[10:11], v[12:13] op_sel:[0,1] op_sel_hi:[1,0] neg_lo:[0,1] neg_hi:[0,1]
	v_pk_add_f32 v[6:7], v[34:35], v[16:17]
	v_pk_fma_f32 v[18:19], v[4:5], v[22:23], v[8:9] op_sel:[0,0,1] op_sel_hi:[0,1,0]
	v_pk_fma_f32 v[4:5], v[4:5], v[22:23], v[8:9] op_sel:[0,0,1] op_sel_hi:[0,1,0] neg_lo:[1,0,0] neg_hi:[1,0,0]
	v_mov_b32_e32 v13, v11
	v_mov_b32_e32 v19, v5
	;; [unrolled: 1-line block ×3, first 2 shown]
	v_pk_add_f32 v[8:9], v[34:35], v[16:17] neg_lo:[0,1] neg_hi:[0,1]
	v_fmac_f32_e32 v5, -0.5, v7
	v_fmac_f32_e32 v11, -0.5, v6
	v_fmamk_f32 v6, v8, 0xbf5db3d7, v5
	v_fmac_f32_e32 v5, 0x3f5db3d7, v8
	v_mov_b32_e32 v12, v20
	v_fmamk_f32 v4, v9, 0x3f5db3d7, v11
	v_fmac_f32_e32 v11, 0xbf5db3d7, v9
	v_mul_f32_e32 v20, 0.5, v5
	v_fmac_f32_e32 v20, 0x3f5db3d7, v11
	v_pk_add_f32 v[8:9], v[18:19], v[34:35]
	v_pk_add_f32 v[2:3], v[2:3], v[36:37]
	v_mul_f32_e32 v22, 0xbf5db3d7, v5
	v_pk_add_f32 v[8:9], v[8:9], v[16:17]
	v_sub_f32_e32 v5, v21, v20
	v_pk_mul_f32 v[6:7], v[6:7], s[0:1] op_sel_hi:[0,1]
	v_pk_add_f32 v[2:3], v[2:3], v[24:25]
	v_fmac_f32_e32 v22, 0.5, v11
	v_pk_fma_f32 v[6:7], v[4:5], s[4:5], v[6:7] op_sel_hi:[0,1,1] neg_lo:[0,0,1] neg_hi:[0,0,1]
	v_pk_add_f32 v[18:19], v[2:3], v[8:9] neg_lo:[0,1] neg_hi:[0,1]
	v_pk_add_f32 v[2:3], v[2:3], v[8:9]
	v_sub_f32_e32 v4, v10, v22
	v_add_f32_e32 v11, v21, v20
	v_add_f32_e32 v10, v10, v22
	global_store_dwordx2 v[14:15], v[2:3], off
	global_store_dwordx2 v[26:27], v[10:11], off
	v_pk_add_f32 v[2:3], v[12:13], v[6:7]
	v_pk_add_f32 v[16:17], v[12:13], v[6:7] neg_lo:[0,1] neg_hi:[0,1]
	global_store_dwordx2 v[28:29], v[2:3], off
	global_store_dwordx2 v[30:31], v[18:19], off
	;; [unrolled: 1-line block ×4, first 2 shown]
.LBB0_15:
	s_endpgm
	.section	.rodata,"a",@progbits
	.p2align	6, 0x0
	.amdhsa_kernel fft_rtc_back_len1296_factors_6_6_6_6_wgs_108_tpt_108_halfLds_sp_ip_CI_sbrr_dirReg
		.amdhsa_group_segment_fixed_size 0
		.amdhsa_private_segment_fixed_size 0
		.amdhsa_kernarg_size 88
		.amdhsa_user_sgpr_count 2
		.amdhsa_user_sgpr_dispatch_ptr 0
		.amdhsa_user_sgpr_queue_ptr 0
		.amdhsa_user_sgpr_kernarg_segment_ptr 1
		.amdhsa_user_sgpr_dispatch_id 0
		.amdhsa_user_sgpr_kernarg_preload_length 0
		.amdhsa_user_sgpr_kernarg_preload_offset 0
		.amdhsa_user_sgpr_private_segment_size 0
		.amdhsa_uses_dynamic_stack 0
		.amdhsa_enable_private_segment 0
		.amdhsa_system_sgpr_workgroup_id_x 1
		.amdhsa_system_sgpr_workgroup_id_y 0
		.amdhsa_system_sgpr_workgroup_id_z 0
		.amdhsa_system_sgpr_workgroup_info 0
		.amdhsa_system_vgpr_workitem_id 0
		.amdhsa_next_free_vgpr 68
		.amdhsa_next_free_sgpr 24
		.amdhsa_accum_offset 68
		.amdhsa_reserve_vcc 1
		.amdhsa_float_round_mode_32 0
		.amdhsa_float_round_mode_16_64 0
		.amdhsa_float_denorm_mode_32 3
		.amdhsa_float_denorm_mode_16_64 3
		.amdhsa_dx10_clamp 1
		.amdhsa_ieee_mode 1
		.amdhsa_fp16_overflow 0
		.amdhsa_tg_split 0
		.amdhsa_exception_fp_ieee_invalid_op 0
		.amdhsa_exception_fp_denorm_src 0
		.amdhsa_exception_fp_ieee_div_zero 0
		.amdhsa_exception_fp_ieee_overflow 0
		.amdhsa_exception_fp_ieee_underflow 0
		.amdhsa_exception_fp_ieee_inexact 0
		.amdhsa_exception_int_div_zero 0
	.end_amdhsa_kernel
	.text
.Lfunc_end0:
	.size	fft_rtc_back_len1296_factors_6_6_6_6_wgs_108_tpt_108_halfLds_sp_ip_CI_sbrr_dirReg, .Lfunc_end0-fft_rtc_back_len1296_factors_6_6_6_6_wgs_108_tpt_108_halfLds_sp_ip_CI_sbrr_dirReg
                                        ; -- End function
	.section	.AMDGPU.csdata,"",@progbits
; Kernel info:
; codeLenInByte = 6828
; NumSgprs: 30
; NumVgprs: 68
; NumAgprs: 0
; TotalNumVgprs: 68
; ScratchSize: 0
; MemoryBound: 0
; FloatMode: 240
; IeeeMode: 1
; LDSByteSize: 0 bytes/workgroup (compile time only)
; SGPRBlocks: 3
; VGPRBlocks: 8
; NumSGPRsForWavesPerEU: 30
; NumVGPRsForWavesPerEU: 68
; AccumOffset: 68
; Occupancy: 7
; WaveLimiterHint : 1
; COMPUTE_PGM_RSRC2:SCRATCH_EN: 0
; COMPUTE_PGM_RSRC2:USER_SGPR: 2
; COMPUTE_PGM_RSRC2:TRAP_HANDLER: 0
; COMPUTE_PGM_RSRC2:TGID_X_EN: 1
; COMPUTE_PGM_RSRC2:TGID_Y_EN: 0
; COMPUTE_PGM_RSRC2:TGID_Z_EN: 0
; COMPUTE_PGM_RSRC2:TIDIG_COMP_CNT: 0
; COMPUTE_PGM_RSRC3_GFX90A:ACCUM_OFFSET: 16
; COMPUTE_PGM_RSRC3_GFX90A:TG_SPLIT: 0
	.text
	.p2alignl 6, 3212836864
	.fill 256, 4, 3212836864
	.type	__hip_cuid_4524a1765b985ef,@object ; @__hip_cuid_4524a1765b985ef
	.section	.bss,"aw",@nobits
	.globl	__hip_cuid_4524a1765b985ef
__hip_cuid_4524a1765b985ef:
	.byte	0                               ; 0x0
	.size	__hip_cuid_4524a1765b985ef, 1

	.ident	"AMD clang version 19.0.0git (https://github.com/RadeonOpenCompute/llvm-project roc-6.4.0 25133 c7fe45cf4b819c5991fe208aaa96edf142730f1d)"
	.section	".note.GNU-stack","",@progbits
	.addrsig
	.addrsig_sym __hip_cuid_4524a1765b985ef
	.amdgpu_metadata
---
amdhsa.kernels:
  - .agpr_count:     0
    .args:
      - .actual_access:  read_only
        .address_space:  global
        .offset:         0
        .size:           8
        .value_kind:     global_buffer
      - .offset:         8
        .size:           8
        .value_kind:     by_value
      - .actual_access:  read_only
        .address_space:  global
        .offset:         16
        .size:           8
        .value_kind:     global_buffer
      - .actual_access:  read_only
        .address_space:  global
        .offset:         24
        .size:           8
        .value_kind:     global_buffer
      - .offset:         32
        .size:           8
        .value_kind:     by_value
      - .actual_access:  read_only
        .address_space:  global
        .offset:         40
        .size:           8
        .value_kind:     global_buffer
      - .actual_access:  read_only
        .address_space:  global
        .offset:         48
        .size:           8
        .value_kind:     global_buffer
      - .offset:         56
        .size:           4
        .value_kind:     by_value
      - .actual_access:  read_only
        .address_space:  global
        .offset:         64
        .size:           8
        .value_kind:     global_buffer
      - .actual_access:  read_only
        .address_space:  global
        .offset:         72
        .size:           8
        .value_kind:     global_buffer
      - .address_space:  global
        .offset:         80
        .size:           8
        .value_kind:     global_buffer
    .group_segment_fixed_size: 0
    .kernarg_segment_align: 8
    .kernarg_segment_size: 88
    .language:       OpenCL C
    .language_version:
      - 2
      - 0
    .max_flat_workgroup_size: 108
    .name:           fft_rtc_back_len1296_factors_6_6_6_6_wgs_108_tpt_108_halfLds_sp_ip_CI_sbrr_dirReg
    .private_segment_fixed_size: 0
    .sgpr_count:     30
    .sgpr_spill_count: 0
    .symbol:         fft_rtc_back_len1296_factors_6_6_6_6_wgs_108_tpt_108_halfLds_sp_ip_CI_sbrr_dirReg.kd
    .uniform_work_group_size: 1
    .uses_dynamic_stack: false
    .vgpr_count:     68
    .vgpr_spill_count: 0
    .wavefront_size: 64
amdhsa.target:   amdgcn-amd-amdhsa--gfx950
amdhsa.version:
  - 1
  - 2
...

	.end_amdgpu_metadata
